;; amdgpu-corpus repo=ROCm/rocFFT kind=compiled arch=gfx906 opt=O3
	.text
	.amdgcn_target "amdgcn-amd-amdhsa--gfx906"
	.amdhsa_code_object_version 6
	.protected	fft_rtc_back_len1470_factors_2_3_5_7_7_wgs_210_tpt_210_halfLds_half_ip_CI_unitstride_sbrr_dirReg ; -- Begin function fft_rtc_back_len1470_factors_2_3_5_7_7_wgs_210_tpt_210_halfLds_half_ip_CI_unitstride_sbrr_dirReg
	.globl	fft_rtc_back_len1470_factors_2_3_5_7_7_wgs_210_tpt_210_halfLds_half_ip_CI_unitstride_sbrr_dirReg
	.p2align	8
	.type	fft_rtc_back_len1470_factors_2_3_5_7_7_wgs_210_tpt_210_halfLds_half_ip_CI_unitstride_sbrr_dirReg,@function
fft_rtc_back_len1470_factors_2_3_5_7_7_wgs_210_tpt_210_halfLds_half_ip_CI_unitstride_sbrr_dirReg: ; @fft_rtc_back_len1470_factors_2_3_5_7_7_wgs_210_tpt_210_halfLds_half_ip_CI_unitstride_sbrr_dirReg
; %bb.0:
	s_load_dwordx2 s[12:13], s[4:5], 0x50
	s_load_dwordx4 s[8:11], s[4:5], 0x0
	s_load_dwordx2 s[2:3], s[4:5], 0x18
	v_mul_u32_u24_e32 v1, 0x139, v0
	v_add_u32_sdwa v5, s6, v1 dst_sel:DWORD dst_unused:UNUSED_PAD src0_sel:DWORD src1_sel:WORD_1
	v_mov_b32_e32 v3, 0
	s_waitcnt lgkmcnt(0)
	v_cmp_lt_u64_e64 s[0:1], s[10:11], 2
	v_mov_b32_e32 v1, 0
	v_mov_b32_e32 v6, v3
	s_and_b64 vcc, exec, s[0:1]
	v_mov_b32_e32 v2, 0
	s_cbranch_vccnz .LBB0_8
; %bb.1:
	s_load_dwordx2 s[0:1], s[4:5], 0x10
	s_add_u32 s6, s2, 8
	s_addc_u32 s7, s3, 0
	v_mov_b32_e32 v1, 0
	v_mov_b32_e32 v2, 0
	s_waitcnt lgkmcnt(0)
	s_add_u32 s14, s0, 8
	s_addc_u32 s15, s1, 0
	s_mov_b64 s[16:17], 1
.LBB0_2:                                ; =>This Inner Loop Header: Depth=1
	s_load_dwordx2 s[18:19], s[14:15], 0x0
                                        ; implicit-def: $vgpr7_vgpr8
	s_waitcnt lgkmcnt(0)
	v_or_b32_e32 v4, s19, v6
	v_cmp_ne_u64_e32 vcc, 0, v[3:4]
	s_and_saveexec_b64 s[0:1], vcc
	s_xor_b64 s[20:21], exec, s[0:1]
	s_cbranch_execz .LBB0_4
; %bb.3:                                ;   in Loop: Header=BB0_2 Depth=1
	v_cvt_f32_u32_e32 v4, s18
	v_cvt_f32_u32_e32 v7, s19
	s_sub_u32 s0, 0, s18
	s_subb_u32 s1, 0, s19
	v_mac_f32_e32 v4, 0x4f800000, v7
	v_rcp_f32_e32 v4, v4
	v_mul_f32_e32 v4, 0x5f7ffffc, v4
	v_mul_f32_e32 v7, 0x2f800000, v4
	v_trunc_f32_e32 v7, v7
	v_mac_f32_e32 v4, 0xcf800000, v7
	v_cvt_u32_f32_e32 v7, v7
	v_cvt_u32_f32_e32 v4, v4
	v_mul_lo_u32 v8, s0, v7
	v_mul_hi_u32 v9, s0, v4
	v_mul_lo_u32 v11, s1, v4
	v_mul_lo_u32 v10, s0, v4
	v_add_u32_e32 v8, v9, v8
	v_add_u32_e32 v8, v8, v11
	v_mul_hi_u32 v9, v4, v10
	v_mul_lo_u32 v11, v4, v8
	v_mul_hi_u32 v13, v4, v8
	v_mul_hi_u32 v12, v7, v10
	v_mul_lo_u32 v10, v7, v10
	v_mul_hi_u32 v14, v7, v8
	v_add_co_u32_e32 v9, vcc, v9, v11
	v_addc_co_u32_e32 v11, vcc, 0, v13, vcc
	v_mul_lo_u32 v8, v7, v8
	v_add_co_u32_e32 v9, vcc, v9, v10
	v_addc_co_u32_e32 v9, vcc, v11, v12, vcc
	v_addc_co_u32_e32 v10, vcc, 0, v14, vcc
	v_add_co_u32_e32 v8, vcc, v9, v8
	v_addc_co_u32_e32 v9, vcc, 0, v10, vcc
	v_add_co_u32_e32 v4, vcc, v4, v8
	v_addc_co_u32_e32 v7, vcc, v7, v9, vcc
	v_mul_lo_u32 v8, s0, v7
	v_mul_hi_u32 v9, s0, v4
	v_mul_lo_u32 v10, s1, v4
	v_mul_lo_u32 v11, s0, v4
	v_add_u32_e32 v8, v9, v8
	v_add_u32_e32 v8, v8, v10
	v_mul_lo_u32 v12, v4, v8
	v_mul_hi_u32 v13, v4, v11
	v_mul_hi_u32 v14, v4, v8
	;; [unrolled: 1-line block ×3, first 2 shown]
	v_mul_lo_u32 v11, v7, v11
	v_mul_hi_u32 v9, v7, v8
	v_add_co_u32_e32 v12, vcc, v13, v12
	v_addc_co_u32_e32 v13, vcc, 0, v14, vcc
	v_mul_lo_u32 v8, v7, v8
	v_add_co_u32_e32 v11, vcc, v12, v11
	v_addc_co_u32_e32 v10, vcc, v13, v10, vcc
	v_addc_co_u32_e32 v9, vcc, 0, v9, vcc
	v_add_co_u32_e32 v8, vcc, v10, v8
	v_addc_co_u32_e32 v9, vcc, 0, v9, vcc
	v_add_co_u32_e32 v4, vcc, v4, v8
	v_addc_co_u32_e32 v9, vcc, v7, v9, vcc
	v_mad_u64_u32 v[7:8], s[0:1], v5, v9, 0
	v_mul_hi_u32 v10, v5, v4
	v_add_co_u32_e32 v11, vcc, v10, v7
	v_addc_co_u32_e32 v12, vcc, 0, v8, vcc
	v_mad_u64_u32 v[7:8], s[0:1], v6, v4, 0
	v_mad_u64_u32 v[9:10], s[0:1], v6, v9, 0
	v_add_co_u32_e32 v4, vcc, v11, v7
	v_addc_co_u32_e32 v4, vcc, v12, v8, vcc
	v_addc_co_u32_e32 v7, vcc, 0, v10, vcc
	v_add_co_u32_e32 v4, vcc, v4, v9
	v_addc_co_u32_e32 v9, vcc, 0, v7, vcc
	v_mul_lo_u32 v10, s19, v4
	v_mul_lo_u32 v11, s18, v9
	v_mad_u64_u32 v[7:8], s[0:1], s18, v4, 0
	v_add3_u32 v8, v8, v11, v10
	v_sub_u32_e32 v10, v6, v8
	v_mov_b32_e32 v11, s19
	v_sub_co_u32_e32 v7, vcc, v5, v7
	v_subb_co_u32_e64 v10, s[0:1], v10, v11, vcc
	v_subrev_co_u32_e64 v11, s[0:1], s18, v7
	v_subbrev_co_u32_e64 v10, s[0:1], 0, v10, s[0:1]
	v_cmp_le_u32_e64 s[0:1], s19, v10
	v_cndmask_b32_e64 v12, 0, -1, s[0:1]
	v_cmp_le_u32_e64 s[0:1], s18, v11
	v_cndmask_b32_e64 v11, 0, -1, s[0:1]
	v_cmp_eq_u32_e64 s[0:1], s19, v10
	v_cndmask_b32_e64 v10, v12, v11, s[0:1]
	v_add_co_u32_e64 v11, s[0:1], 2, v4
	v_addc_co_u32_e64 v12, s[0:1], 0, v9, s[0:1]
	v_add_co_u32_e64 v13, s[0:1], 1, v4
	v_addc_co_u32_e64 v14, s[0:1], 0, v9, s[0:1]
	v_subb_co_u32_e32 v8, vcc, v6, v8, vcc
	v_cmp_ne_u32_e64 s[0:1], 0, v10
	v_cmp_le_u32_e32 vcc, s19, v8
	v_cndmask_b32_e64 v10, v14, v12, s[0:1]
	v_cndmask_b32_e64 v12, 0, -1, vcc
	v_cmp_le_u32_e32 vcc, s18, v7
	v_cndmask_b32_e64 v7, 0, -1, vcc
	v_cmp_eq_u32_e32 vcc, s19, v8
	v_cndmask_b32_e32 v7, v12, v7, vcc
	v_cmp_ne_u32_e32 vcc, 0, v7
	v_cndmask_b32_e64 v7, v13, v11, s[0:1]
	v_cndmask_b32_e32 v8, v9, v10, vcc
	v_cndmask_b32_e32 v7, v4, v7, vcc
.LBB0_4:                                ;   in Loop: Header=BB0_2 Depth=1
	s_andn2_saveexec_b64 s[0:1], s[20:21]
	s_cbranch_execz .LBB0_6
; %bb.5:                                ;   in Loop: Header=BB0_2 Depth=1
	v_cvt_f32_u32_e32 v4, s18
	s_sub_i32 s20, 0, s18
	v_rcp_iflag_f32_e32 v4, v4
	v_mul_f32_e32 v4, 0x4f7ffffe, v4
	v_cvt_u32_f32_e32 v4, v4
	v_mul_lo_u32 v7, s20, v4
	v_mul_hi_u32 v7, v4, v7
	v_add_u32_e32 v4, v4, v7
	v_mul_hi_u32 v4, v5, v4
	v_mul_lo_u32 v7, v4, s18
	v_add_u32_e32 v8, 1, v4
	v_sub_u32_e32 v7, v5, v7
	v_subrev_u32_e32 v9, s18, v7
	v_cmp_le_u32_e32 vcc, s18, v7
	v_cndmask_b32_e32 v7, v7, v9, vcc
	v_cndmask_b32_e32 v4, v4, v8, vcc
	v_add_u32_e32 v8, 1, v4
	v_cmp_le_u32_e32 vcc, s18, v7
	v_cndmask_b32_e32 v7, v4, v8, vcc
	v_mov_b32_e32 v8, v3
.LBB0_6:                                ;   in Loop: Header=BB0_2 Depth=1
	s_or_b64 exec, exec, s[0:1]
	v_mul_lo_u32 v4, v8, s18
	v_mul_lo_u32 v11, v7, s19
	v_mad_u64_u32 v[9:10], s[0:1], v7, s18, 0
	s_load_dwordx2 s[0:1], s[6:7], 0x0
	s_add_u32 s16, s16, 1
	v_add3_u32 v4, v10, v11, v4
	v_sub_co_u32_e32 v5, vcc, v5, v9
	v_subb_co_u32_e32 v4, vcc, v6, v4, vcc
	s_waitcnt lgkmcnt(0)
	v_mul_lo_u32 v4, s0, v4
	v_mul_lo_u32 v6, s1, v5
	v_mad_u64_u32 v[1:2], s[0:1], s0, v5, v[1:2]
	s_addc_u32 s17, s17, 0
	s_add_u32 s6, s6, 8
	v_add3_u32 v2, v6, v2, v4
	v_mov_b32_e32 v4, s10
	v_mov_b32_e32 v5, s11
	s_addc_u32 s7, s7, 0
	v_cmp_ge_u64_e32 vcc, s[16:17], v[4:5]
	s_add_u32 s14, s14, 8
	s_addc_u32 s15, s15, 0
	s_cbranch_vccnz .LBB0_9
; %bb.7:                                ;   in Loop: Header=BB0_2 Depth=1
	v_mov_b32_e32 v5, v7
	v_mov_b32_e32 v6, v8
	s_branch .LBB0_2
.LBB0_8:
	v_mov_b32_e32 v8, v6
	v_mov_b32_e32 v7, v5
.LBB0_9:
	s_lshl_b64 s[0:1], s[10:11], 3
	s_add_u32 s0, s2, s0
	s_addc_u32 s1, s3, s1
	s_load_dwordx2 s[2:3], s[0:1], 0x0
	s_load_dwordx2 s[6:7], s[4:5], 0x20
                                        ; implicit-def: $vgpr18
                                        ; implicit-def: $vgpr19
                                        ; implicit-def: $vgpr11
                                        ; implicit-def: $vgpr20
                                        ; implicit-def: $vgpr9
                                        ; implicit-def: $vgpr21
                                        ; implicit-def: $vgpr10
                                        ; implicit-def: $vgpr22
                                        ; implicit-def: $vgpr12
                                        ; implicit-def: $vgpr23
                                        ; implicit-def: $vgpr13
                                        ; implicit-def: $vgpr14
                                        ; implicit-def: $vgpr15
	s_waitcnt lgkmcnt(0)
	v_mad_u64_u32 v[4:5], s[0:1], s2, v7, v[1:2]
	s_mov_b32 s0, 0x1381382
	v_mul_lo_u32 v3, s2, v8
	v_mul_lo_u32 v6, s3, v7
	v_mul_hi_u32 v1, v0, s0
	v_cmp_gt_u64_e64 s[0:1], s[6:7], v[7:8]
	v_mov_b32_e32 v8, 0
	v_add3_u32 v5, v6, v5, v3
	v_mul_u32_u24_e32 v1, 0xd2, v1
	v_sub_u32_e32 v3, v0, v1
	v_lshlrev_b64 v[0:1], 2, v[4:5]
	v_mov_b32_e32 v2, 0
	v_mov_b32_e32 v4, 0
                                        ; implicit-def: $vgpr7
	s_and_saveexec_b64 s[2:3], s[0:1]
	s_cbranch_execz .LBB0_13
; %bb.10:
	v_mov_b32_e32 v4, 0
	v_mov_b32_e32 v2, s13
	v_add_co_u32_e32 v7, vcc, s12, v0
	v_lshlrev_b64 v[5:6], 2, v[3:4]
	v_addc_co_u32_e32 v2, vcc, v2, v1, vcc
	v_add_co_u32_e32 v5, vcc, v7, v5
	v_addc_co_u32_e32 v6, vcc, v2, v6, vcc
	v_add_co_u32_e32 v14, vcc, 0x1000, v5
	global_load_dword v7, v[5:6], off
	global_load_dword v9, v[5:6], off offset:840
	v_addc_co_u32_e32 v15, vcc, 0, v6, vcc
	global_load_dword v10, v[5:6], off offset:3780
	global_load_dword v13, v[14:15], off offset:524
	global_load_dword v11, v[5:6], off offset:2940
	global_load_dword v12, v[5:6], off offset:1680
	s_movk_i32 s4, 0x69
	v_cmp_gt_u32_e32 vcc, s4, v3
	v_mov_b32_e32 v8, v4
                                        ; implicit-def: $vgpr15
                                        ; implicit-def: $vgpr14
	s_and_saveexec_b64 s[4:5], vcc
	s_cbranch_execz .LBB0_12
; %bb.11:
	v_add_co_u32_e32 v16, vcc, 0x1000, v5
	v_addc_co_u32_e32 v17, vcc, 0, v6, vcc
	global_load_dword v4, v[5:6], off offset:2520
	global_load_dword v15, v[16:17], off offset:1364
	s_waitcnt vmcnt(1)
	v_lshrrev_b32_e32 v8, 16, v4
	s_waitcnt vmcnt(0)
	v_lshrrev_b32_e32 v14, 16, v15
.LBB0_12:
	s_or_b64 exec, exec, s[4:5]
	s_waitcnt vmcnt(5)
	v_lshrrev_b32_e32 v18, 16, v7
	s_waitcnt vmcnt(1)
	v_lshrrev_b32_e32 v19, 16, v11
	v_lshrrev_b32_e32 v20, 16, v9
	;; [unrolled: 1-line block ×3, first 2 shown]
	s_waitcnt vmcnt(0)
	v_lshrrev_b32_e32 v22, 16, v12
	v_lshrrev_b32_e32 v23, 16, v13
	v_mov_b32_e32 v2, v3
.LBB0_13:
	s_or_b64 exec, exec, s[2:3]
	v_sub_f16_e32 v5, v7, v11
	v_fma_f16 v6, v7, 2.0, -v5
	v_sub_f16_e32 v10, v9, v10
	v_lshl_add_u32 v24, v3, 2, 0
	v_pack_b32_f16 v5, v6, v5
	v_fma_f16 v11, v9, 2.0, -v10
	ds_write_b32 v24, v5
	v_add_u32_e32 v5, 0xd2, v3
	v_sub_f16_e32 v13, v12, v13
	v_lshl_add_u32 v26, v5, 2, 0
	v_pack_b32_f16 v6, v11, v10
	v_fma_f16 v12, v12, 2.0, -v13
	ds_write_b32 v26, v6
	v_add_u32_e32 v6, 0x1a4, v3
	v_lshl_add_u32 v27, v6, 2, 0
	v_pack_b32_f16 v10, v12, v13
	v_sub_f16_e32 v9, v4, v15
	ds_write_b32 v27, v10
	v_add_u32_e32 v10, 0x276, v3
	s_movk_i32 s2, 0x69
	v_fma_f16 v7, v4, 2.0, -v9
	v_lshlrev_b32_e32 v4, 1, v3
	v_cmp_gt_u32_e32 vcc, s2, v3
	v_lshl_add_u32 v25, v10, 2, 0
	s_and_saveexec_b64 s[2:3], vcc
	s_cbranch_execz .LBB0_15
; %bb.14:
	s_mov_b32 s4, 0x5040100
	v_perm_b32 v10, v9, v7, s4
	ds_write_b32 v25, v10
.LBB0_15:
	s_or_b64 exec, exec, s[2:3]
	v_sub_u32_e32 v11, v24, v4
	s_waitcnt lgkmcnt(0)
	s_barrier
	ds_read_u16 v10, v11
	ds_read_u16 v12, v11 offset:2380
	ds_read_u16 v15, v11 offset:1960
	;; [unrolled: 1-line block ×5, first 2 shown]
	v_sub_u32_e32 v4, 0, v4
	s_movk_i32 s2, 0x46
	v_cmp_gt_u32_e64 s[2:3], s2, v3
	v_add_u32_e32 v4, v24, v4
                                        ; implicit-def: $vgpr17
	s_and_saveexec_b64 s[4:5], s[2:3]
	s_cbranch_execz .LBB0_17
; %bb.16:
	ds_read_u16 v7, v4 offset:840
	ds_read_u16 v9, v4 offset:1820
	;; [unrolled: 1-line block ×3, first 2 shown]
.LBB0_17:
	s_or_b64 exec, exec, s[4:5]
	v_sub_f16_e32 v19, v18, v19
	v_fma_f16 v28, v18, 2.0, -v19
	v_sub_f16_e32 v21, v20, v21
	v_fma_f16 v20, v20, 2.0, -v21
	v_sub_f16_e32 v23, v22, v23
	v_sub_f16_e32 v18, v8, v14
	v_pack_b32_f16 v14, v28, v19
	v_fma_f16 v22, v22, 2.0, -v23
	s_waitcnt lgkmcnt(0)
	s_barrier
	ds_write_b32 v24, v14
	v_pack_b32_f16 v14, v20, v21
	v_fma_f16 v8, v8, 2.0, -v18
	ds_write_b32 v26, v14
	v_pack_b32_f16 v14, v22, v23
	ds_write_b32 v27, v14
	s_and_saveexec_b64 s[4:5], vcc
	s_cbranch_execz .LBB0_19
; %bb.18:
	s_mov_b32 s6, 0x5040100
	v_perm_b32 v14, v18, v8, s6
	ds_write_b32 v25, v14
.LBB0_19:
	s_or_b64 exec, exec, s[4:5]
	s_waitcnt lgkmcnt(0)
	s_barrier
	ds_read_u16 v20, v4
	ds_read_u16 v19, v4 offset:2380
	ds_read_u16 v23, v4 offset:1960
	;; [unrolled: 1-line block ×5, first 2 shown]
                                        ; implicit-def: $vgpr24
	s_and_saveexec_b64 s[4:5], s[2:3]
	s_cbranch_execz .LBB0_21
; %bb.20:
	ds_read_u16 v8, v4 offset:840
	ds_read_u16 v18, v4 offset:1820
	;; [unrolled: 1-line block ×3, first 2 shown]
.LBB0_21:
	s_or_b64 exec, exec, s[4:5]
	v_and_b32_e32 v14, 1, v3
	v_lshlrev_b32_e32 v26, 3, v14
	global_load_dwordx2 v[35:36], v26, s[8:9]
	v_lshrrev_b32_e32 v26, 1, v3
	v_lshrrev_b32_e32 v27, 1, v5
	v_mul_u32_u24_e32 v26, 6, v26
	v_mul_u32_u24_e32 v27, 6, v27
	v_or_b32_e32 v26, v26, v14
	v_or_b32_e32 v28, v27, v14
	v_lshl_add_u32 v27, v26, 1, 0
	v_lshl_add_u32 v26, v28, 1, 0
	s_mov_b32 s4, 0xbaee
	s_movk_i32 s5, 0x3aee
	s_waitcnt vmcnt(0) lgkmcnt(0)
	s_barrier
	v_mul_f16_sdwa v28, v25, v35 dst_sel:DWORD dst_unused:UNUSED_PAD src0_sel:DWORD src1_sel:WORD_1
	v_mul_f16_sdwa v31, v23, v36 dst_sel:DWORD dst_unused:UNUSED_PAD src0_sel:DWORD src1_sel:WORD_1
	;; [unrolled: 1-line block ×9, first 2 shown]
	v_fma_f16 v30, v16, v35, v28
	v_fma_f16 v32, v15, v36, v31
	v_mul_f16_sdwa v40, v12, v36 dst_sel:DWORD dst_unused:UNUSED_PAD src0_sel:DWORD src1_sel:WORD_1
	v_mul_f16_sdwa v42, v9, v35 dst_sel:DWORD dst_unused:UNUSED_PAD src0_sel:DWORD src1_sel:WORD_1
	v_mul_f16_sdwa v44, v17, v36 dst_sel:DWORD dst_unused:UNUSED_PAD src0_sel:DWORD src1_sel:WORD_1
	v_fma_f16 v33, v25, v35, -v29
	v_fma_f16 v34, v23, v36, -v34
	v_fma_f16 v23, v13, v35, v37
	v_fma_f16 v29, v22, v35, -v38
	v_fma_f16 v28, v12, v36, v39
	v_fma_f16 v9, v9, v35, v41
	;; [unrolled: 1-line block ×3, first 2 shown]
	v_add_f16_e32 v12, v30, v32
	v_fma_f16 v31, v19, v36, -v40
	v_fma_f16 v25, v18, v35, -v42
	;; [unrolled: 1-line block ×3, first 2 shown]
	v_sub_f16_e32 v13, v33, v34
	v_add_f16_e32 v15, v23, v28
	v_add_f16_e32 v17, v9, v22
	v_add_f16_e32 v19, v10, v30
	v_add_f16_e32 v35, v11, v23
	v_fma_f16 v10, v12, -0.5, v10
	v_sub_f16_e32 v16, v29, v31
	v_sub_f16_e32 v18, v25, v24
	v_add_f16_e32 v36, v7, v9
	v_fma_f16 v12, v15, -0.5, v11
	v_fma_f16 v15, v17, -0.5, v7
	v_add_f16_e32 v17, v19, v32
	v_add_f16_e32 v19, v35, v28
	v_fma_f16 v35, v13, s4, v10
	v_add_f16_e32 v11, v36, v22
	v_fma_f16 v10, v13, s5, v10
	v_fma_f16 v36, v16, s4, v12
	v_fma_f16 v7, v16, s5, v12
	v_fma_f16 v13, v18, s4, v15
	v_fma_f16 v12, v18, s5, v15
	ds_write_b16 v27, v17
	ds_write_b16 v27, v35 offset:4
	ds_write_b16 v27, v10 offset:8
	ds_write_b16 v26, v19
	ds_write_b16 v26, v36 offset:4
	ds_write_b16 v26, v7 offset:8
	v_lshrrev_b32_e32 v35, 1, v6
	s_and_saveexec_b64 s[4:5], s[2:3]
	s_cbranch_execz .LBB0_23
; %bb.22:
	v_mul_u32_u24_e32 v6, 6, v35
	v_or_b32_e32 v6, v6, v14
	v_lshl_add_u32 v6, v6, 1, 0
	ds_write_b16 v6, v11
	ds_write_b16 v6, v13 offset:4
	ds_write_b16 v6, v12 offset:8
.LBB0_23:
	s_or_b64 exec, exec, s[4:5]
	s_waitcnt lgkmcnt(0)
	s_barrier
	ds_read_u16 v10, v4
	ds_read_u16 v19, v4 offset:588
	ds_read_u16 v18, v4 offset:1176
	;; [unrolled: 1-line block ×4, first 2 shown]
	s_movk_i32 s4, 0x54
	v_cmp_gt_u32_e32 vcc, s4, v3
                                        ; implicit-def: $vgpr15
	s_and_saveexec_b64 s[4:5], vcc
	s_cbranch_execz .LBB0_25
; %bb.24:
	ds_read_u16 v7, v4 offset:420
	ds_read_u16 v11, v4 offset:1008
	;; [unrolled: 1-line block ×5, first 2 shown]
.LBB0_25:
	s_or_b64 exec, exec, s[4:5]
	v_add_f16_e32 v6, v20, v33
	v_add_f16_e32 v36, v6, v34
	;; [unrolled: 1-line block ×3, first 2 shown]
	v_fma_f16 v6, v6, -0.5, v20
	v_sub_f16_e32 v20, v30, v32
	s_movk_i32 s4, 0x3aee
	s_mov_b32 s5, 0xbaee
	v_fma_f16 v30, v20, s4, v6
	v_fma_f16 v32, v20, s5, v6
	v_add_f16_e32 v6, v21, v29
	v_add_f16_e32 v33, v6, v31
	;; [unrolled: 1-line block ×3, first 2 shown]
	v_fma_f16 v6, v6, -0.5, v21
	v_sub_f16_e32 v20, v23, v28
	v_fma_f16 v23, v20, s4, v6
	v_fma_f16 v6, v20, s5, v6
	v_add_f16_e32 v20, v8, v25
	v_add_f16_e32 v21, v20, v24
	;; [unrolled: 1-line block ×3, first 2 shown]
	v_fma_f16 v8, v20, -0.5, v8
	v_sub_f16_e32 v9, v9, v22
	v_fma_f16 v22, v9, s4, v8
	v_fma_f16 v20, v9, s5, v8
	s_waitcnt lgkmcnt(0)
	s_barrier
	ds_write_b16 v27, v36
	ds_write_b16 v27, v30 offset:4
	ds_write_b16 v27, v32 offset:8
	ds_write_b16 v26, v33
	ds_write_b16 v26, v23 offset:4
	ds_write_b16 v26, v6 offset:8
	s_and_saveexec_b64 s[4:5], s[2:3]
	s_cbranch_execz .LBB0_27
; %bb.26:
	v_mul_u32_u24_e32 v8, 6, v35
	v_or_b32_e32 v8, v8, v14
	v_lshl_add_u32 v8, v8, 1, 0
	ds_write_b16 v8, v21
	ds_write_b16 v8, v22 offset:4
	ds_write_b16 v8, v20 offset:8
.LBB0_27:
	s_or_b64 exec, exec, s[4:5]
	s_waitcnt lgkmcnt(0)
	s_barrier
	ds_read_u16 v8, v4
	ds_read_u16 v27, v4 offset:588
	ds_read_u16 v26, v4 offset:1176
	;; [unrolled: 1-line block ×4, first 2 shown]
                                        ; implicit-def: $vgpr23
	s_and_saveexec_b64 s[2:3], vcc
	s_cbranch_execz .LBB0_29
; %bb.28:
	ds_read_u16 v6, v4 offset:420
	ds_read_u16 v21, v4 offset:1008
	;; [unrolled: 1-line block ×5, first 2 shown]
.LBB0_29:
	s_or_b64 exec, exec, s[2:3]
	s_movk_i32 s2, 0xab
	v_mul_lo_u16_sdwa v9, v3, s2 dst_sel:DWORD dst_unused:UNUSED_PAD src0_sel:BYTE_0 src1_sel:DWORD
	v_lshrrev_b16_e32 v9, 10, v9
	v_mul_lo_u16_e32 v14, 6, v9
	v_sub_u16_e32 v14, v3, v14
	v_mov_b32_e32 v28, 4
	v_lshlrev_b32_sdwa v28, v28, v14 dst_sel:DWORD dst_unused:UNUSED_PAD src0_sel:DWORD src1_sel:BYTE_0
	s_mov_b32 s2, 0xaaab
	global_load_dwordx4 v[29:32], v28, s[8:9] offset:16
	v_mul_u32_u24_sdwa v28, v5, s2 dst_sel:DWORD dst_unused:UNUSED_PAD src0_sel:WORD_0 src1_sel:DWORD
	v_lshrrev_b32_e32 v28, 18, v28
	v_mul_lo_u16_e32 v33, 6, v28
	v_sub_u16_e32 v37, v5, v33
	v_lshlrev_b32_e32 v5, 4, v37
	global_load_dwordx4 v[33:36], v5, s[8:9] offset:16
	v_mov_b32_e32 v5, 1
	v_mul_u32_u24_e32 v38, 60, v9
	v_lshlrev_b32_sdwa v5, v5, v14 dst_sel:DWORD dst_unused:UNUSED_PAD src0_sel:DWORD src1_sel:BYTE_0
	v_add3_u32 v14, 0, v38, v5
	v_mul_lo_u16_e32 v9, 30, v28
	s_mov_b32 s7, 0xbb9c
	s_movk_i32 s6, 0x3b9c
	s_mov_b32 s4, 0xb8b4
	s_movk_i32 s10, 0x38b4
	s_movk_i32 s5, 0x34f2
	s_waitcnt vmcnt(0) lgkmcnt(0)
	s_barrier
	v_mul_f16_sdwa v5, v27, v29 dst_sel:DWORD dst_unused:UNUSED_PAD src0_sel:DWORD src1_sel:WORD_1
	v_mul_f16_sdwa v38, v19, v29 dst_sel:DWORD dst_unused:UNUSED_PAD src0_sel:DWORD src1_sel:WORD_1
	v_mul_f16_sdwa v39, v26, v30 dst_sel:DWORD dst_unused:UNUSED_PAD src0_sel:DWORD src1_sel:WORD_1
	v_mul_f16_sdwa v40, v18, v30 dst_sel:DWORD dst_unused:UNUSED_PAD src0_sel:DWORD src1_sel:WORD_1
	v_mul_f16_sdwa v41, v25, v31 dst_sel:DWORD dst_unused:UNUSED_PAD src0_sel:DWORD src1_sel:WORD_1
	v_mul_f16_sdwa v42, v17, v31 dst_sel:DWORD dst_unused:UNUSED_PAD src0_sel:DWORD src1_sel:WORD_1
	v_mul_f16_sdwa v43, v24, v32 dst_sel:DWORD dst_unused:UNUSED_PAD src0_sel:DWORD src1_sel:WORD_1
	v_mul_f16_sdwa v44, v16, v32 dst_sel:DWORD dst_unused:UNUSED_PAD src0_sel:DWORD src1_sel:WORD_1
	v_mul_f16_sdwa v48, v13, v34 dst_sel:DWORD dst_unused:UNUSED_PAD src0_sel:DWORD src1_sel:WORD_1
	v_mul_f16_sdwa v49, v20, v35 dst_sel:DWORD dst_unused:UNUSED_PAD src0_sel:DWORD src1_sel:WORD_1
	v_fma_f16 v28, v19, v29, v5
	v_fma_f16 v5, v27, v29, -v38
	v_fma_f16 v29, v18, v30, v39
	v_fma_f16 v26, v26, v30, -v40
	v_fma_f16 v30, v17, v31, v41
	v_mul_f16_sdwa v45, v21, v33 dst_sel:DWORD dst_unused:UNUSED_PAD src0_sel:DWORD src1_sel:WORD_1
	v_mul_f16_sdwa v46, v11, v33 dst_sel:DWORD dst_unused:UNUSED_PAD src0_sel:DWORD src1_sel:WORD_1
	;; [unrolled: 1-line block ×4, first 2 shown]
	v_fma_f16 v25, v25, v31, -v42
	v_fma_f16 v31, v16, v32, v43
	v_fma_f16 v27, v24, v32, -v44
	v_fma_f16 v17, v22, v34, -v48
	v_fma_f16 v22, v12, v35, v49
	v_add_f16_e32 v12, v29, v30
	v_mul_f16_sdwa v19, v23, v36 dst_sel:DWORD dst_unused:UNUSED_PAD src0_sel:DWORD src1_sel:WORD_1
	v_mul_f16_sdwa v38, v15, v36 dst_sel:DWORD dst_unused:UNUSED_PAD src0_sel:DWORD src1_sel:WORD_1
	v_fma_f16 v24, v11, v33, v45
	v_fma_f16 v16, v21, v33, -v46
	v_fma_f16 v21, v13, v34, v47
	v_add_f16_e32 v11, v10, v28
	v_sub_f16_e32 v13, v5, v27
	v_add_f16_e32 v33, v28, v31
	v_fma_f16 v12, v12, -0.5, v10
	v_fma_f16 v18, v20, v35, -v50
	v_fma_f16 v20, v15, v36, v19
	v_fma_f16 v19, v23, v36, -v38
	v_sub_f16_e32 v15, v26, v25
	v_sub_f16_e32 v23, v28, v29
	;; [unrolled: 1-line block ×5, first 2 shown]
	v_add_f16_e32 v11, v11, v29
	v_fma_f16 v10, v33, -0.5, v10
	v_fma_f16 v33, v13, s7, v12
	v_fma_f16 v12, v13, s6, v12
	v_add_f16_e32 v23, v23, v32
	v_add_f16_e32 v32, v34, v35
	;; [unrolled: 1-line block ×3, first 2 shown]
	v_fma_f16 v34, v15, s6, v10
	v_fma_f16 v10, v15, s7, v10
	;; [unrolled: 1-line block ×4, first 2 shown]
	v_add_f16_e32 v11, v11, v31
	v_fma_f16 v15, v13, s4, v34
	v_fma_f16 v10, v13, s10, v10
	v_fma_f16 v13, v23, s5, v33
	v_fma_f16 v12, v23, s5, v12
	v_lshlrev_b32_e32 v23, 1, v37
	v_fma_f16 v15, v32, s5, v15
	v_fma_f16 v10, v32, s5, v10
	ds_write_b16 v14, v11
	ds_write_b16 v14, v13 offset:12
	ds_write_b16 v14, v15 offset:24
	;; [unrolled: 1-line block ×4, first 2 shown]
	s_and_saveexec_b64 s[2:3], vcc
	s_cbranch_execz .LBB0_31
; %bb.30:
	v_add_f16_e32 v12, v24, v20
	v_sub_f16_e32 v10, v21, v24
	v_sub_f16_e32 v11, v22, v20
	v_fma_f16 v12, v12, -0.5, v7
	v_sub_f16_e32 v13, v17, v18
	v_add_f16_e32 v10, v10, v11
	v_sub_f16_e32 v11, v16, v19
	v_fma_f16 v15, v13, s7, v12
	v_fma_f16 v12, v13, s6, v12
	;; [unrolled: 1-line block ×6, first 2 shown]
	v_sub_f16_e32 v12, v24, v21
	v_sub_f16_e32 v32, v20, v22
	v_add_f16_e32 v12, v12, v32
	v_add_f16_e32 v32, v21, v22
	v_fma_f16 v32, v32, -0.5, v7
	v_fma_f16 v33, v11, s6, v32
	v_fma_f16 v11, v11, s7, v32
	v_add_f16_e32 v7, v7, v24
	v_fma_f16 v33, v13, s10, v33
	v_fma_f16 v11, v13, s4, v11
	v_add_f16_e32 v7, v7, v21
	;; [unrolled: 3-line block ×3, first 2 shown]
	v_lshlrev_b32_e32 v12, 1, v9
	v_add_f16_e32 v7, v7, v20
	v_add3_u32 v12, 0, v23, v12
	ds_write_b16 v12, v7
	ds_write_b16 v12, v11 offset:12
	ds_write_b16 v12, v10 offset:24
	;; [unrolled: 1-line block ×4, first 2 shown]
.LBB0_31:
	s_or_b64 exec, exec, s[2:3]
	v_add_f16_e32 v7, v8, v5
	v_add_f16_e32 v7, v7, v26
	;; [unrolled: 1-line block ×5, first 2 shown]
	v_fma_f16 v7, v7, -0.5, v8
	v_sub_f16_e32 v10, v28, v31
	v_fma_f16 v11, v10, s6, v7
	v_sub_f16_e32 v12, v29, v30
	v_sub_f16_e32 v13, v5, v26
	;; [unrolled: 1-line block ×3, first 2 shown]
	v_fma_f16 v7, v10, s7, v7
	v_add_f16_e32 v13, v13, v15
	v_fma_f16 v7, v12, s4, v7
	v_fma_f16 v29, v13, s5, v7
	v_add_f16_e32 v7, v5, v27
	v_fma_f16 v11, v12, s10, v11
	v_fma_f16 v7, v7, -0.5, v8
	v_fma_f16 v28, v13, s5, v11
	v_fma_f16 v8, v12, s7, v7
	v_sub_f16_e32 v5, v26, v5
	v_sub_f16_e32 v11, v25, v27
	v_fma_f16 v7, v12, s6, v7
	v_fma_f16 v8, v10, s10, v8
	v_add_f16_e32 v5, v5, v11
	v_fma_f16 v7, v10, s4, v7
	v_fma_f16 v25, v5, s5, v8
	;; [unrolled: 1-line block ×3, first 2 shown]
	v_lshl_add_u32 v5, v3, 1, 0
	s_waitcnt lgkmcnt(0)
	s_barrier
	ds_read_u16 v12, v5 offset:840
	ds_read_u16 v13, v4 offset:420
	;; [unrolled: 1-line block ×5, first 2 shown]
	ds_read_u16 v7, v4
	ds_read_u16 v15, v5 offset:1260
	s_waitcnt lgkmcnt(0)
	s_barrier
	ds_write_b16 v14, v32
	ds_write_b16 v14, v28 offset:12
	ds_write_b16 v14, v25 offset:24
	;; [unrolled: 1-line block ×4, first 2 shown]
	s_and_saveexec_b64 s[2:3], vcc
	s_cbranch_execz .LBB0_33
; %bb.32:
	v_add_f16_e32 v25, v17, v18
	v_fma_f16 v25, v25, -0.5, v6
	v_sub_f16_e32 v20, v24, v20
	s_movk_i32 s4, 0x3b9c
	v_fma_f16 v24, v20, s4, v25
	v_sub_f16_e32 v21, v21, v22
	s_movk_i32 s5, 0x38b4
	v_fma_f16 v22, v21, s5, v24
	v_sub_f16_e32 v24, v16, v17
	v_sub_f16_e32 v26, v19, v18
	v_fma_f16 v25, v20, s7, v25
	s_mov_b32 s10, 0xb8b4
	v_add_f16_e32 v24, v24, v26
	s_movk_i32 s6, 0x34f2
	v_fma_f16 v25, v21, s10, v25
	v_add_f16_e32 v14, v6, v16
	v_fma_f16 v22, v24, s6, v22
	v_fma_f16 v24, v24, s6, v25
	v_add_f16_e32 v25, v16, v19
	v_add_f16_e32 v14, v14, v17
	v_fma_f16 v6, v25, -0.5, v6
	v_add_f16_e32 v14, v14, v18
	v_fma_f16 v25, v21, s7, v6
	v_sub_f16_e32 v16, v17, v16
	v_sub_f16_e32 v17, v18, v19
	v_fma_f16 v6, v21, s4, v6
	v_lshlrev_b32_e32 v9, 1, v9
	v_add_f16_e32 v14, v14, v19
	v_fma_f16 v25, v20, s5, v25
	v_add_f16_e32 v16, v16, v17
	v_fma_f16 v6, v20, s10, v6
	v_add3_u32 v9, 0, v23, v9
	v_fma_f16 v17, v16, s6, v25
	v_fma_f16 v6, v16, s6, v6
	ds_write_b16 v9, v14
	ds_write_b16 v9, v22 offset:12
	ds_write_b16 v9, v17 offset:24
	;; [unrolled: 1-line block ×4, first 2 shown]
.LBB0_33:
	s_or_b64 exec, exec, s[2:3]
	s_movk_i32 s2, 0x89
	v_mul_lo_u16_sdwa v6, v3, s2 dst_sel:DWORD dst_unused:UNUSED_PAD src0_sel:BYTE_0 src1_sel:DWORD
	v_lshrrev_b16_e32 v6, 12, v6
	v_mul_lo_u16_e32 v9, 30, v6
	v_sub_u16_e32 v9, v3, v9
	v_mov_b32_e32 v14, 6
	v_mul_u32_u24_sdwa v14, v9, v14 dst_sel:DWORD dst_unused:UNUSED_PAD src0_sel:BYTE_0 src1_sel:DWORD
	v_lshlrev_b32_e32 v14, 2, v14
	s_waitcnt lgkmcnt(0)
	s_barrier
	global_load_dwordx4 v[16:19], v14, s[8:9] offset:112
	global_load_dwordx2 v[20:21], v14, s[8:9] offset:128
	ds_read_u16 v14, v5 offset:840
	ds_read_u16 v22, v5 offset:1260
	ds_read_u16 v23, v4
	ds_read_u16 v24, v4 offset:420
	ds_read_u16 v25, v4 offset:1680
	;; [unrolled: 1-line block ×4, first 2 shown]
	s_movk_i32 s5, 0x2b26
	s_mov_b32 s2, 0xbb00
	s_mov_b32 s4, 0xbcab
	;; [unrolled: 1-line block ×4, first 2 shown]
	s_movk_i32 s7, 0x3574
	s_mov_b32 s10, 0xb70e
	v_mul_u32_u24_e32 v6, 0x1a4, v6
	s_waitcnt vmcnt(0) lgkmcnt(0)
	s_barrier
	s_movk_i32 s3, 0x3a52
	v_mul_f16_sdwa v28, v24, v16 dst_sel:DWORD dst_unused:UNUSED_PAD src0_sel:DWORD src1_sel:WORD_1
	v_mul_f16_sdwa v29, v13, v16 dst_sel:DWORD dst_unused:UNUSED_PAD src0_sel:DWORD src1_sel:WORD_1
	;; [unrolled: 1-line block ×12, first 2 shown]
	v_fma_f16 v13, v13, v16, v28
	v_fma_f16 v16, v24, v16, -v29
	v_fma_f16 v12, v12, v17, v30
	v_fma_f16 v14, v14, v17, -v31
	;; [unrolled: 2-line block ×6, first 2 shown]
	v_add_f16_e32 v21, v13, v8
	v_add_f16_e32 v22, v16, v20
	v_sub_f16_e32 v8, v13, v8
	v_sub_f16_e32 v13, v16, v20
	v_add_f16_e32 v16, v12, v10
	v_add_f16_e32 v20, v14, v19
	v_sub_f16_e32 v10, v12, v10
	v_sub_f16_e32 v12, v14, v19
	;; [unrolled: 4-line block ×4, first 2 shown]
	v_sub_f16_e32 v21, v21, v14
	v_sub_f16_e32 v22, v22, v19
	;; [unrolled: 1-line block ×4, first 2 shown]
	v_add_f16_e32 v26, v11, v10
	v_add_f16_e32 v27, v15, v12
	v_sub_f16_e32 v28, v11, v10
	v_sub_f16_e32 v29, v15, v12
	;; [unrolled: 1-line block ×4, first 2 shown]
	v_add_f16_e32 v14, v14, v17
	v_add_f16_e32 v17, v19, v18
	v_mul_f16_e32 v18, 0x3a52, v21
	v_mul_f16_e32 v19, 0x3a52, v22
	v_sub_f16_e32 v11, v8, v11
	v_sub_f16_e32 v15, v13, v15
	v_add_f16_e32 v8, v26, v8
	v_add_f16_e32 v13, v27, v13
	v_mul_f16_e32 v21, 0x2b26, v16
	v_mul_f16_e32 v22, 0x2b26, v20
	v_mul_f16_e32 v26, 0x3846, v28
	v_mul_f16_e32 v27, 0x3846, v29
	v_mul_f16_e32 v28, 0xbb00, v10
	v_mul_f16_e32 v29, 0xbb00, v12
	v_add_f16_e32 v7, v7, v14
	v_add_f16_e32 v23, v23, v17
	v_fma_f16 v16, v16, s5, v18
	v_fma_f16 v20, v20, s5, v19
	s_movk_i32 s5, 0x39e0
	v_fma_f16 v14, v14, s4, v7
	v_fma_f16 v17, v17, s4, v23
	v_fma_f16 v21, v24, s5, -v21
	v_fma_f16 v22, v25, s5, -v22
	;; [unrolled: 1-line block ×4, first 2 shown]
	v_fma_f16 v24, v11, s11, v26
	v_fma_f16 v25, v15, s11, v27
	v_fma_f16 v10, v10, s2, -v26
	v_fma_f16 v12, v12, s2, -v27
	;; [unrolled: 1-line block ×4, first 2 shown]
	v_add_f16_e32 v16, v16, v14
	v_add_f16_e32 v21, v21, v14
	;; [unrolled: 1-line block ×4, first 2 shown]
	v_fma_f16 v18, v8, s10, v24
	v_fma_f16 v10, v8, s10, v10
	;; [unrolled: 1-line block ×5, first 2 shown]
	v_add_f16_e32 v24, v11, v14
	v_sub_f16_e32 v26, v21, v12
	v_add_f16_e32 v27, v10, v22
	v_add_f16_e32 v12, v12, v21
	v_sub_f16_e32 v21, v22, v10
	v_sub_f16_e32 v10, v14, v11
	v_mov_b32_e32 v11, 1
	v_add_f16_e32 v20, v20, v17
	v_add_f16_e32 v17, v19, v17
	v_fma_f16 v19, v13, s10, v25
	v_lshlrev_b32_sdwa v9, v11, v9 dst_sel:DWORD dst_unused:UNUSED_PAD src0_sel:DWORD src1_sel:BYTE_0
	v_sub_f16_e32 v25, v17, v8
	v_add_f16_e32 v14, v8, v17
	v_sub_f16_e32 v8, v16, v19
	v_add3_u32 v17, 0, v6, v9
	v_add_f16_e32 v13, v19, v16
	ds_write_b16 v17, v7
	ds_write_b16 v17, v13 offset:60
	ds_write_b16 v17, v24 offset:120
	;; [unrolled: 1-line block ×6, first 2 shown]
	s_waitcnt lgkmcnt(0)
	s_barrier
	ds_read_u16 v7, v5 offset:840
	ds_read_u16 v8, v4 offset:1680
	;; [unrolled: 1-line block ×5, first 2 shown]
	ds_read_u16 v6, v4
	ds_read_u16 v12, v5 offset:1260
	v_sub_f16_e32 v15, v20, v18
	v_add_f16_e32 v16, v18, v20
	s_waitcnt lgkmcnt(0)
	s_barrier
	ds_write_b16 v17, v23
	ds_write_b16 v17, v15 offset:60
	ds_write_b16 v17, v25 offset:120
	ds_write_b16 v17, v27 offset:180
	ds_write_b16 v17, v21 offset:240
	ds_write_b16 v17, v14 offset:300
	ds_write_b16 v17, v16 offset:360
	s_waitcnt lgkmcnt(0)
	s_barrier
	s_and_saveexec_b64 s[14:15], s[0:1]
	s_cbranch_execz .LBB0_35
; %bb.34:
	v_mul_u32_u24_e32 v3, 6, v3
	v_lshlrev_b32_e32 v3, 2, v3
	global_load_dwordx4 v[13:16], v3, s[8:9] offset:832
	global_load_dwordx2 v[17:18], v3, s[8:9] offset:848
	ds_read_u16 v3, v4 offset:1680
	ds_read_u16 v19, v5 offset:1260
	;; [unrolled: 1-line block ×6, first 2 shown]
	ds_read_u16 v4, v4
	s_waitcnt vmcnt(1)
	v_lshrrev_b32_e32 v23, 16, v13
	v_lshrrev_b32_e32 v24, 16, v14
	;; [unrolled: 1-line block ×4, first 2 shown]
	v_mul_f16_e32 v27, v10, v13
	s_waitcnt vmcnt(0)
	v_lshrrev_b32_e32 v28, 16, v17
	v_lshrrev_b32_e32 v29, 16, v18
	v_mul_f16_e32 v30, v11, v18
	v_mul_f16_e32 v31, v8, v16
	;; [unrolled: 1-line block ×5, first 2 shown]
	s_waitcnt lgkmcnt(1)
	v_fma_f16 v27, v22, v23, v27
	v_fma_f16 v30, v20, v29, v30
	;; [unrolled: 1-line block ×6, first 2 shown]
	v_mul_f16_e32 v11, v11, v29
	v_mul_f16_e32 v10, v10, v23
	;; [unrolled: 1-line block ×6, first 2 shown]
	v_sub_f16_e32 v24, v31, v32
	v_sub_f16_e32 v25, v33, v34
	v_fma_f16 v11, v20, v18, -v11
	v_fma_f16 v10, v22, v13, -v10
	;; [unrolled: 1-line block ×6, first 2 shown]
	v_add_f16_e32 v7, v27, v30
	v_add_f16_e32 v13, v33, v34
	v_sub_f16_e32 v23, v27, v30
	v_add_f16_e32 v9, v31, v32
	v_add_f16_e32 v16, v24, v25
	v_add_f16_e32 v17, v10, v11
	v_add_f16_e32 v18, v3, v12
	v_add_f16_e32 v19, v5, v8
	v_add_f16_e32 v22, v7, v13
	v_sub_f16_e32 v10, v10, v11
	v_sub_f16_e32 v3, v3, v12
	;; [unrolled: 1-line block ×8, first 2 shown]
	v_add_f16_e32 v12, v23, v16
	v_add_f16_e32 v23, v17, v19
	;; [unrolled: 1-line block ×3, first 2 shown]
	v_sub_f16_e32 v22, v10, v3
	v_sub_f16_e32 v25, v3, v5
	v_add_f16_e32 v3, v3, v5
	v_sub_f16_e32 v5, v5, v10
	v_mul_f16_e32 v11, 0x3846, v15
	v_sub_f16_e32 v15, v17, v18
	v_sub_f16_e32 v16, v18, v19
	v_mul_f16_e32 v26, 0xbb00, v8
	v_add_f16_e32 v18, v18, v23
	v_mul_f16_e32 v23, 0x3846, v25
	v_add_f16_e32 v3, v10, v3
	v_mul_f16_e32 v10, 0xbb00, v5
	v_mul_f16_e32 v21, 0x2b26, v21
	v_fma_f16 v27, v14, s11, v11
	v_mul_f16_e32 v28, 0x3a52, v15
	v_mul_f16_e32 v16, 0x2b26, v16
	v_add_f16_e32 v6, v6, v9
	v_fma_f16 v14, v14, s7, -v26
	s_waitcnt lgkmcnt(0)
	v_add_f16_e32 v4, v4, v18
	v_fma_f16 v26, v22, s11, v23
	v_sub_f16_e32 v17, v19, v17
	v_sub_f16_e32 v7, v13, v7
	v_fma_f16 v10, v22, s7, -v10
	v_fma_f16 v5, v5, s2, -v23
	v_mul_f16_e32 v24, 0x3a52, v20
	v_fma_f16 v15, v15, s3, v16
	v_fma_f16 v9, v9, s4, v6
	;; [unrolled: 1-line block ×4, first 2 shown]
	v_fma_f16 v19, v17, s6, -v28
	v_fma_f16 v10, v3, s10, v10
	v_fma_f16 v3, v3, s10, v5
	v_fma_f16 v5, v7, s5, -v21
	v_fma_f16 v20, v20, s3, v21
	v_fma_f16 v25, v12, s10, v27
	v_add_f16_e32 v15, v15, v18
	v_fma_f16 v14, v12, s10, v14
	v_add_f16_e32 v19, v19, v18
	v_fma_f16 v13, v7, s6, -v24
	v_fma_f16 v8, v8, s2, -v11
	v_add_f16_e32 v5, v5, v9
	v_add_f16_e32 v20, v20, v9
	;; [unrolled: 1-line block ×5, first 2 shown]
	v_fma_f16 v8, v12, s10, v8
	v_add_f16_e32 v7, v3, v5
	v_sub_f16_e32 v5, v5, v3
	v_sub_f16_e32 v9, v19, v14
	;; [unrolled: 1-line block ×3, first 2 shown]
	v_mov_b32_e32 v3, 0
	v_mov_b32_e32 v14, s13
	v_add_co_u32_e32 v15, vcc, s12, v0
	v_addc_co_u32_e32 v14, vcc, v14, v1, vcc
	v_lshlrev_b64 v[0:1], 2, v[2:3]
	v_sub_f16_e32 v22, v13, v10
	v_add_co_u32_e32 v0, vcc, v15, v0
	v_fma_f16 v16, v17, s5, -v16
	v_add_f16_e32 v10, v10, v13
	v_add_f16_e32 v13, v26, v20
	v_addc_co_u32_e32 v1, vcc, v14, v1, vcc
	v_pack_b32_f16 v2, v6, v4
	v_add_f16_e32 v16, v16, v18
	global_store_dword v[0:1], v2, off
	v_pack_b32_f16 v2, v13, v12
	v_sub_f16_e32 v11, v16, v8
	v_add_f16_e32 v8, v8, v16
	global_store_dword v[0:1], v2, off offset:840
	v_pack_b32_f16 v2, v10, v9
	global_store_dword v[0:1], v2, off offset:1680
	v_pack_b32_f16 v2, v5, v8
	;; [unrolled: 2-line block ×3, first 2 shown]
	global_store_dword v[0:1], v2, off offset:3360
	v_add_co_u32_e32 v0, vcc, 0x1000, v0
	v_sub_f16_e32 v27, v20, v26
	v_pack_b32_f16 v2, v22, v28
	v_addc_co_u32_e32 v1, vcc, 0, v1, vcc
	global_store_dword v[0:1], v2, off offset:104
	v_pack_b32_f16 v2, v27, v29
	global_store_dword v[0:1], v2, off offset:944
.LBB0_35:
	s_endpgm
	.section	.rodata,"a",@progbits
	.p2align	6, 0x0
	.amdhsa_kernel fft_rtc_back_len1470_factors_2_3_5_7_7_wgs_210_tpt_210_halfLds_half_ip_CI_unitstride_sbrr_dirReg
		.amdhsa_group_segment_fixed_size 0
		.amdhsa_private_segment_fixed_size 0
		.amdhsa_kernarg_size 88
		.amdhsa_user_sgpr_count 6
		.amdhsa_user_sgpr_private_segment_buffer 1
		.amdhsa_user_sgpr_dispatch_ptr 0
		.amdhsa_user_sgpr_queue_ptr 0
		.amdhsa_user_sgpr_kernarg_segment_ptr 1
		.amdhsa_user_sgpr_dispatch_id 0
		.amdhsa_user_sgpr_flat_scratch_init 0
		.amdhsa_user_sgpr_private_segment_size 0
		.amdhsa_uses_dynamic_stack 0
		.amdhsa_system_sgpr_private_segment_wavefront_offset 0
		.amdhsa_system_sgpr_workgroup_id_x 1
		.amdhsa_system_sgpr_workgroup_id_y 0
		.amdhsa_system_sgpr_workgroup_id_z 0
		.amdhsa_system_sgpr_workgroup_info 0
		.amdhsa_system_vgpr_workitem_id 0
		.amdhsa_next_free_vgpr 51
		.amdhsa_next_free_sgpr 22
		.amdhsa_reserve_vcc 1
		.amdhsa_reserve_flat_scratch 0
		.amdhsa_float_round_mode_32 0
		.amdhsa_float_round_mode_16_64 0
		.amdhsa_float_denorm_mode_32 3
		.amdhsa_float_denorm_mode_16_64 3
		.amdhsa_dx10_clamp 1
		.amdhsa_ieee_mode 1
		.amdhsa_fp16_overflow 0
		.amdhsa_exception_fp_ieee_invalid_op 0
		.amdhsa_exception_fp_denorm_src 0
		.amdhsa_exception_fp_ieee_div_zero 0
		.amdhsa_exception_fp_ieee_overflow 0
		.amdhsa_exception_fp_ieee_underflow 0
		.amdhsa_exception_fp_ieee_inexact 0
		.amdhsa_exception_int_div_zero 0
	.end_amdhsa_kernel
	.text
.Lfunc_end0:
	.size	fft_rtc_back_len1470_factors_2_3_5_7_7_wgs_210_tpt_210_halfLds_half_ip_CI_unitstride_sbrr_dirReg, .Lfunc_end0-fft_rtc_back_len1470_factors_2_3_5_7_7_wgs_210_tpt_210_halfLds_half_ip_CI_unitstride_sbrr_dirReg
                                        ; -- End function
	.section	.AMDGPU.csdata,"",@progbits
; Kernel info:
; codeLenInByte = 6112
; NumSgprs: 26
; NumVgprs: 51
; ScratchSize: 0
; MemoryBound: 0
; FloatMode: 240
; IeeeMode: 1
; LDSByteSize: 0 bytes/workgroup (compile time only)
; SGPRBlocks: 3
; VGPRBlocks: 12
; NumSGPRsForWavesPerEU: 26
; NumVGPRsForWavesPerEU: 51
; Occupancy: 4
; WaveLimiterHint : 1
; COMPUTE_PGM_RSRC2:SCRATCH_EN: 0
; COMPUTE_PGM_RSRC2:USER_SGPR: 6
; COMPUTE_PGM_RSRC2:TRAP_HANDLER: 0
; COMPUTE_PGM_RSRC2:TGID_X_EN: 1
; COMPUTE_PGM_RSRC2:TGID_Y_EN: 0
; COMPUTE_PGM_RSRC2:TGID_Z_EN: 0
; COMPUTE_PGM_RSRC2:TIDIG_COMP_CNT: 0
	.type	__hip_cuid_147a4d883b3cb6ba,@object ; @__hip_cuid_147a4d883b3cb6ba
	.section	.bss,"aw",@nobits
	.globl	__hip_cuid_147a4d883b3cb6ba
__hip_cuid_147a4d883b3cb6ba:
	.byte	0                               ; 0x0
	.size	__hip_cuid_147a4d883b3cb6ba, 1

	.ident	"AMD clang version 19.0.0git (https://github.com/RadeonOpenCompute/llvm-project roc-6.4.0 25133 c7fe45cf4b819c5991fe208aaa96edf142730f1d)"
	.section	".note.GNU-stack","",@progbits
	.addrsig
	.addrsig_sym __hip_cuid_147a4d883b3cb6ba
	.amdgpu_metadata
---
amdhsa.kernels:
  - .args:
      - .actual_access:  read_only
        .address_space:  global
        .offset:         0
        .size:           8
        .value_kind:     global_buffer
      - .offset:         8
        .size:           8
        .value_kind:     by_value
      - .actual_access:  read_only
        .address_space:  global
        .offset:         16
        .size:           8
        .value_kind:     global_buffer
      - .actual_access:  read_only
        .address_space:  global
        .offset:         24
        .size:           8
        .value_kind:     global_buffer
      - .offset:         32
        .size:           8
        .value_kind:     by_value
      - .actual_access:  read_only
        .address_space:  global
        .offset:         40
        .size:           8
        .value_kind:     global_buffer
      - .actual_access:  read_only
        .address_space:  global
        .offset:         48
        .size:           8
        .value_kind:     global_buffer
      - .offset:         56
        .size:           4
        .value_kind:     by_value
      - .actual_access:  read_only
        .address_space:  global
        .offset:         64
        .size:           8
        .value_kind:     global_buffer
      - .actual_access:  read_only
        .address_space:  global
        .offset:         72
        .size:           8
        .value_kind:     global_buffer
      - .address_space:  global
        .offset:         80
        .size:           8
        .value_kind:     global_buffer
    .group_segment_fixed_size: 0
    .kernarg_segment_align: 8
    .kernarg_segment_size: 88
    .language:       OpenCL C
    .language_version:
      - 2
      - 0
    .max_flat_workgroup_size: 210
    .name:           fft_rtc_back_len1470_factors_2_3_5_7_7_wgs_210_tpt_210_halfLds_half_ip_CI_unitstride_sbrr_dirReg
    .private_segment_fixed_size: 0
    .sgpr_count:     26
    .sgpr_spill_count: 0
    .symbol:         fft_rtc_back_len1470_factors_2_3_5_7_7_wgs_210_tpt_210_halfLds_half_ip_CI_unitstride_sbrr_dirReg.kd
    .uniform_work_group_size: 1
    .uses_dynamic_stack: false
    .vgpr_count:     51
    .vgpr_spill_count: 0
    .wavefront_size: 64
amdhsa.target:   amdgcn-amd-amdhsa--gfx906
amdhsa.version:
  - 1
  - 2
...

	.end_amdgpu_metadata
